;; amdgpu-corpus repo=ROCm/rocFFT kind=compiled arch=gfx1030 opt=O3
	.text
	.amdgcn_target "amdgcn-amd-amdhsa--gfx1030"
	.amdhsa_code_object_version 6
	.protected	fft_rtc_back_len104_factors_13_8_wgs_208_tpt_13_dp_ip_CI_sbcc_dirReg_intrinsicRead ; -- Begin function fft_rtc_back_len104_factors_13_8_wgs_208_tpt_13_dp_ip_CI_sbcc_dirReg_intrinsicRead
	.globl	fft_rtc_back_len104_factors_13_8_wgs_208_tpt_13_dp_ip_CI_sbcc_dirReg_intrinsicRead
	.p2align	8
	.type	fft_rtc_back_len104_factors_13_8_wgs_208_tpt_13_dp_ip_CI_sbcc_dirReg_intrinsicRead,@function
fft_rtc_back_len104_factors_13_8_wgs_208_tpt_13_dp_ip_CI_sbcc_dirReg_intrinsicRead: ; @fft_rtc_back_len104_factors_13_8_wgs_208_tpt_13_dp_ip_CI_sbcc_dirReg_intrinsicRead
; %bb.0:
	s_load_dwordx4 s[0:3], s[4:5], 0x18
	s_mov_b32 s7, 0
	s_mov_b64 s[20:21], 0
	s_waitcnt lgkmcnt(0)
	s_load_dwordx2 s[16:17], s[0:1], 0x8
	s_waitcnt lgkmcnt(0)
	s_add_u32 s8, s16, -1
	s_addc_u32 s9, s17, -1
	s_lshr_b64 s[8:9], s[8:9], 4
	s_add_u32 s14, s8, 1
	s_addc_u32 s15, s9, 0
	v_cmp_lt_u64_e64 s8, s[6:7], s[14:15]
	s_and_b32 vcc_lo, exec_lo, s8
	s_cbranch_vccnz .LBB0_2
; %bb.1:
	v_cvt_f32_u32_e32 v1, s14
	s_sub_i32 s9, 0, s14
	s_mov_b32 s21, s7
	v_rcp_iflag_f32_e32 v1, v1
	v_mul_f32_e32 v1, 0x4f7ffffe, v1
	v_cvt_u32_f32_e32 v1, v1
	v_readfirstlane_b32 s8, v1
	s_mul_i32 s9, s9, s8
	s_mul_hi_u32 s9, s8, s9
	s_add_i32 s8, s8, s9
	s_mul_hi_u32 s8, s6, s8
	s_mul_i32 s9, s8, s14
	s_add_i32 s10, s8, 1
	s_sub_i32 s9, s6, s9
	s_sub_i32 s11, s9, s14
	s_cmp_ge_u32 s9, s14
	s_cselect_b32 s8, s10, s8
	s_cselect_b32 s9, s11, s9
	s_add_i32 s10, s8, 1
	s_cmp_ge_u32 s9, s14
	s_cselect_b32 s20, s10, s8
.LBB0_2:
	s_load_dwordx4 s[8:11], s[2:3], 0x0
	s_load_dwordx2 s[22:23], s[4:5], 0x10
	s_mul_i32 s12, s20, s15
	s_mul_hi_u32 s13, s20, s14
	s_mul_i32 s18, s20, s14
	s_add_i32 s13, s13, s12
	s_sub_u32 s18, s6, s18
	s_subb_u32 s19, 0, s13
	s_clause 0x1
	s_load_dwordx2 s[12:13], s[4:5], 0x58
	s_load_dwordx2 s[4:5], s[4:5], 0x0
	v_alignbit_b32 v1, s19, s18, 28
	s_lshl_b64 s[18:19], s[18:19], 4
	s_waitcnt lgkmcnt(0)
	v_mul_lo_u32 v1, s10, v1
	s_mul_hi_u32 s24, s10, s18
	v_cmp_lt_u64_e64 s25, s[22:23], 3
	s_mul_i32 s26, s11, s18
	s_and_b32 vcc_lo, exec_lo, s25
	v_add_nc_u32_e32 v1, s24, v1
	s_mul_i32 s24, s10, s18
	v_mov_b32_e32 v2, s24
	v_add_nc_u32_e32 v1, s26, v1
	s_cbranch_vccnz .LBB0_11
; %bb.3:
	s_add_u32 s24, s2, 16
	s_addc_u32 s25, s3, 0
	s_add_u32 s0, s0, 16
	s_addc_u32 s1, s1, 0
	s_mov_b64 s[26:27], 2
	s_mov_b32 s28, 0
	s_branch .LBB0_5
.LBB0_4:                                ;   in Loop: Header=BB0_5 Depth=1
	s_load_dwordx2 s[36:37], s[24:25], 0x0
	s_mul_i32 s15, s30, s15
	s_mul_hi_u32 s29, s30, s14
	s_mul_i32 s33, s31, s14
	s_mul_i32 s31, s34, s31
	s_mul_hi_u32 s38, s34, s30
	s_mul_i32 s39, s35, s30
	s_add_i32 s15, s29, s15
	s_add_i32 s29, s38, s31
	s_mul_i32 s40, s34, s30
	s_add_i32 s15, s15, s33
	s_add_i32 s29, s29, s39
	s_sub_u32 s20, s20, s40
	s_subb_u32 s21, s21, s29
	s_mul_i32 s14, s30, s14
	s_waitcnt lgkmcnt(0)
	s_mul_i32 s21, s36, s21
	s_mul_hi_u32 s29, s36, s20
	s_mul_i32 s31, s37, s20
	s_add_i32 s21, s29, s21
	s_mul_i32 s20, s36, s20
	s_add_i32 s21, s21, s31
	s_add_u32 s26, s26, 1
	s_addc_u32 s27, s27, 0
	v_add_co_u32 v2, vcc_lo, s20, v2
	v_cmp_ge_u64_e64 s29, s[26:27], s[22:23]
	v_add_co_ci_u32_e32 v1, vcc_lo, s21, v1, vcc_lo
	s_add_u32 s24, s24, 8
	s_addc_u32 s25, s25, 0
	s_add_u32 s0, s0, 8
	s_addc_u32 s1, s1, 0
	s_and_b32 vcc_lo, exec_lo, s29
	s_mov_b64 s[20:21], s[34:35]
	s_cbranch_vccnz .LBB0_9
.LBB0_5:                                ; =>This Inner Loop Header: Depth=1
	s_load_dwordx2 s[30:31], s[0:1], 0x0
	s_waitcnt lgkmcnt(0)
	s_or_b64 s[34:35], s[20:21], s[30:31]
	s_mov_b32 s29, s35
                                        ; implicit-def: $sgpr34_sgpr35
	s_cmp_lg_u64 s[28:29], 0
	s_mov_b32 s29, -1
	s_cbranch_scc0 .LBB0_7
; %bb.6:                                ;   in Loop: Header=BB0_5 Depth=1
	v_cvt_f32_u32_e32 v3, s30
	v_cvt_f32_u32_e32 v4, s31
	s_sub_u32 s34, 0, s30
	s_subb_u32 s35, 0, s31
	v_fmac_f32_e32 v3, 0x4f800000, v4
	v_rcp_f32_e32 v3, v3
	v_mul_f32_e32 v3, 0x5f7ffffc, v3
	v_mul_f32_e32 v4, 0x2f800000, v3
	v_trunc_f32_e32 v4, v4
	v_fmac_f32_e32 v3, 0xcf800000, v4
	v_cvt_u32_f32_e32 v4, v4
	v_cvt_u32_f32_e32 v3, v3
	v_readfirstlane_b32 s29, v4
	v_readfirstlane_b32 s33, v3
	s_mul_i32 s36, s34, s29
	s_mul_hi_u32 s38, s34, s33
	s_mul_i32 s37, s35, s33
	s_add_i32 s36, s38, s36
	s_mul_i32 s39, s34, s33
	s_add_i32 s36, s36, s37
	s_mul_hi_u32 s38, s33, s39
	s_mul_hi_u32 s40, s29, s39
	s_mul_i32 s37, s29, s39
	s_mul_hi_u32 s39, s33, s36
	s_mul_i32 s33, s33, s36
	s_mul_hi_u32 s41, s29, s36
	s_add_u32 s33, s38, s33
	s_addc_u32 s38, 0, s39
	s_add_u32 s33, s33, s37
	s_mul_i32 s36, s29, s36
	s_addc_u32 s33, s38, s40
	s_addc_u32 s37, s41, 0
	s_add_u32 s33, s33, s36
	s_addc_u32 s36, 0, s37
	v_add_co_u32 v3, s33, v3, s33
	s_cmp_lg_u32 s33, 0
	s_addc_u32 s29, s29, s36
	v_readfirstlane_b32 s33, v3
	s_mul_i32 s36, s34, s29
	s_mul_hi_u32 s37, s34, s33
	s_mul_i32 s35, s35, s33
	s_add_i32 s36, s37, s36
	s_mul_i32 s34, s34, s33
	s_add_i32 s36, s36, s35
	s_mul_hi_u32 s37, s29, s34
	s_mul_i32 s38, s29, s34
	s_mul_hi_u32 s34, s33, s34
	s_mul_hi_u32 s39, s33, s36
	s_mul_i32 s33, s33, s36
	s_mul_hi_u32 s35, s29, s36
	s_add_u32 s33, s34, s33
	s_addc_u32 s34, 0, s39
	s_add_u32 s33, s33, s38
	s_mul_i32 s36, s29, s36
	s_addc_u32 s33, s34, s37
	s_addc_u32 s34, s35, 0
	s_add_u32 s33, s33, s36
	s_addc_u32 s34, 0, s34
	v_add_co_u32 v3, s33, v3, s33
	s_cmp_lg_u32 s33, 0
	s_addc_u32 s29, s29, s34
	v_readfirstlane_b32 s33, v3
	s_mul_i32 s35, s20, s29
	s_mul_hi_u32 s34, s20, s29
	s_mul_hi_u32 s36, s21, s29
	s_mul_i32 s29, s21, s29
	s_mul_hi_u32 s37, s20, s33
	s_mul_hi_u32 s38, s21, s33
	s_mul_i32 s33, s21, s33
	s_add_u32 s35, s37, s35
	s_addc_u32 s34, 0, s34
	s_add_u32 s33, s35, s33
	s_addc_u32 s33, s34, s38
	s_addc_u32 s34, s36, 0
	s_add_u32 s33, s33, s29
	s_addc_u32 s34, 0, s34
	s_mul_hi_u32 s29, s30, s33
	s_mul_i32 s36, s30, s34
	s_mul_i32 s37, s30, s33
	s_add_i32 s29, s29, s36
	v_sub_co_u32 v3, s36, s20, s37
	s_mul_i32 s35, s31, s33
	s_add_i32 s29, s29, s35
	v_sub_co_u32 v4, s37, v3, s30
	s_sub_i32 s35, s21, s29
	s_cmp_lg_u32 s36, 0
	s_subb_u32 s35, s35, s31
	s_cmp_lg_u32 s37, 0
	v_readfirstlane_b32 s37, v4
	s_subb_u32 s35, s35, 0
	s_cmp_ge_u32 s35, s31
	s_cselect_b32 s38, -1, 0
	s_cmp_ge_u32 s37, s30
	s_cselect_b32 s37, -1, 0
	s_cmp_eq_u32 s35, s31
	s_cselect_b32 s35, s37, s38
	s_add_u32 s37, s33, 1
	s_addc_u32 s38, s34, 0
	s_add_u32 s39, s33, 2
	s_addc_u32 s40, s34, 0
	s_cmp_lg_u32 s35, 0
	s_cselect_b32 s37, s39, s37
	s_cselect_b32 s35, s40, s38
	s_cmp_lg_u32 s36, 0
	v_readfirstlane_b32 s36, v3
	s_subb_u32 s29, s21, s29
	s_cmp_ge_u32 s29, s31
	s_cselect_b32 s38, -1, 0
	s_cmp_ge_u32 s36, s30
	s_cselect_b32 s36, -1, 0
	s_cmp_eq_u32 s29, s31
	s_cselect_b32 s29, s36, s38
	s_cmp_lg_u32 s29, 0
	s_mov_b32 s29, 0
	s_cselect_b32 s35, s35, s34
	s_cselect_b32 s34, s37, s33
.LBB0_7:                                ;   in Loop: Header=BB0_5 Depth=1
	s_andn2_b32 vcc_lo, exec_lo, s29
	s_cbranch_vccnz .LBB0_4
; %bb.8:                                ;   in Loop: Header=BB0_5 Depth=1
	v_cvt_f32_u32_e32 v3, s30
	s_sub_i32 s33, 0, s30
	v_rcp_iflag_f32_e32 v3, v3
	v_mul_f32_e32 v3, 0x4f7ffffe, v3
	v_cvt_u32_f32_e32 v3, v3
	v_readfirstlane_b32 s29, v3
	s_mul_i32 s33, s33, s29
	s_mul_hi_u32 s33, s29, s33
	s_add_i32 s29, s29, s33
	s_mul_hi_u32 s29, s20, s29
	s_mul_i32 s33, s29, s30
	s_add_i32 s34, s29, 1
	s_sub_i32 s33, s20, s33
	s_sub_i32 s35, s33, s30
	s_cmp_ge_u32 s33, s30
	s_cselect_b32 s29, s34, s29
	s_cselect_b32 s33, s35, s33
	s_add_i32 s34, s29, 1
	s_cmp_ge_u32 s33, s30
	s_mov_b32 s35, s28
	s_cselect_b32 s34, s34, s29
	s_branch .LBB0_4
.LBB0_9:
	v_cmp_lt_u64_e64 s0, s[6:7], s[14:15]
	s_mov_b64 s[20:21], 0
	s_and_b32 vcc_lo, exec_lo, s0
	s_cbranch_vccnz .LBB0_11
; %bb.10:
	v_cvt_f32_u32_e32 v3, s14
	s_sub_i32 s1, 0, s14
	v_rcp_iflag_f32_e32 v3, v3
	v_mul_f32_e32 v3, 0x4f7ffffe, v3
	v_cvt_u32_f32_e32 v3, v3
	v_readfirstlane_b32 s0, v3
	s_mul_i32 s1, s1, s0
	s_mul_hi_u32 s1, s0, s1
	s_add_i32 s0, s0, s1
	s_mul_hi_u32 s0, s6, s0
	s_mul_i32 s1, s0, s14
	s_sub_i32 s1, s6, s1
	s_add_i32 s6, s0, 1
	s_sub_i32 s7, s1, s14
	s_cmp_ge_u32 s1, s14
	s_cselect_b32 s0, s6, s0
	s_cselect_b32 s1, s7, s1
	s_add_i32 s6, s0, 1
	s_cmp_ge_u32 s1, s14
	s_cselect_b32 s20, s6, s0
.LBB0_11:
	s_lshl_b64 s[0:1], s[22:23], 3
	v_and_b32_e32 v83, 15, v0
	s_add_u32 s0, s2, s0
	s_addc_u32 s1, s3, s1
	v_mov_b32_e32 v4, s19
	s_load_dwordx2 s[2:3], s[0:1], 0x0
	v_or_b32_e32 v3, s18, v83
	v_cmp_gt_u32_e64 s1, 0x80, v0
	v_lshrrev_b32_e32 v84, 4, v0
	v_mad_u64_u32 v[53:54], null, s10, v83, 0
	v_cmp_gt_u64_e32 vcc_lo, s[16:17], v[3:4]
	v_cmp_lt_u32_e64 s0, 0x7f, v0
	v_cndmask_b32_e64 v5, 0, 1, s1
	v_add_nc_u32_e32 v7, 8, v84
	v_mul_lo_u32 v6, s8, v84
	v_or_b32_e32 v8, 16, v84
	v_cndmask_b32_e64 v3, 0, 1, vcc_lo
	v_add_nc_u32_e32 v9, 24, v84
	v_mul_lo_u32 v4, s8, v7
	v_or_b32_e32 v10, 32, v84
	v_add_nc_u32_e32 v11, 40, v84
	v_add_nc_u32_e32 v13, 56, v84
	v_mul_lo_u32 v7, s8, v8
	v_mul_lo_u32 v8, s8, v9
	s_waitcnt lgkmcnt(0)
	s_mul_i32 s3, s3, s20
	s_mul_hi_u32 s6, s2, s20
	v_add_lshl_u32 v4, v53, v4, 4
	s_add_i32 s3, s6, s3
	s_add_u32 s6, s18, 16
	s_addc_u32 s7, s19, 0
	v_mul_lo_u32 v9, s8, v10
	v_cmp_le_u64_e64 s10, s[6:7], s[16:17]
	v_mul_lo_u32 v10, s8, v11
	v_mul_lo_u32 v11, s8, v13
	v_or_b32_e32 v12, 48, v84
	s_mov_b32 s15, 0x31014000
	s_mov_b32 s14, -2
	s_or_b32 s0, s0, s10
	v_or_b32_e32 v13, 0x60, v84
	v_cndmask_b32_e64 v3, v3, v5, s0
	s_mul_i32 s0, s2, s20
	v_add_lshl_u32 v5, v53, v7, 4
	v_add_co_u32 v55, s0, s0, v2
	v_and_b32_e32 v3, 1, v3
	v_add_co_ci_u32_e64 v56, s0, s3, v1, s0
	v_add_lshl_u32 v2, v53, v6, 4
	v_lshlrev_b32_e32 v1, 4, v55
	v_cmp_eq_u32_e64 s0, 1, v3
	v_mul_lo_u32 v3, s8, v12
	v_mul_lo_u32 v13, s8, v13
	v_readfirstlane_b32 s2, v1
	v_cndmask_b32_e64 v1, -1, v2, s0
	v_cndmask_b32_e64 v2, -1, v4, s0
	v_add_lshl_u32 v4, v53, v8, 4
	v_cndmask_b32_e64 v12, -1, v5, s0
	s_clause 0x1
	buffer_load_dwordx4 v[5:8], v1, s[12:15], s2 offen
	buffer_load_dwordx4 v[29:32], v2, s[12:15], s2 offen
	v_add_lshl_u32 v2, v53, v9, 4
	v_cndmask_b32_e64 v1, -1, v4, s0
	v_add_lshl_u32 v4, v53, v10, 4
	v_add_lshl_u32 v9, v53, v11, 4
	s_clause 0x1
	buffer_load_dwordx4 v[33:36], v12, s[12:15], s2 offen
	buffer_load_dwordx4 v[37:40], v1, s[12:15], s2 offen
	v_cndmask_b32_e64 v1, -1, v2, s0
	v_cndmask_b32_e64 v2, -1, v4, s0
	;; [unrolled: 1-line block ×3, first 2 shown]
	v_or_b32_e32 v9, 64, v84
	v_add_nc_u32_e32 v10, 0x48, v84
	v_or_b32_e32 v11, 0x50, v84
	v_add_nc_u32_e32 v12, 0x58, v84
	v_add_lshl_u32 v3, v53, v3, 4
	v_mul_lo_u32 v9, s8, v9
	v_mul_lo_u32 v10, s8, v10
	;; [unrolled: 1-line block ×4, first 2 shown]
	v_cndmask_b32_e64 v3, -1, v3, s0
	s_clause 0x3
	buffer_load_dwordx4 v[45:48], v1, s[12:15], s2 offen
	buffer_load_dwordx4 v[49:52], v2, s[12:15], s2 offen
	;; [unrolled: 1-line block ×4, first 2 shown]
	v_add_lshl_u32 v1, v53, v9, 4
	v_add_lshl_u32 v2, v53, v10, 4
	;; [unrolled: 1-line block ×5, first 2 shown]
	v_cndmask_b32_e64 v1, -1, v1, s0
	v_cndmask_b32_e64 v2, -1, v2, s0
	;; [unrolled: 1-line block ×5, first 2 shown]
	s_clause 0x4
	buffer_load_dwordx4 v[21:24], v1, s[12:15], s2 offen
	buffer_load_dwordx4 v[17:20], v2, s[12:15], s2 offen
	;; [unrolled: 1-line block ×5, first 2 shown]
	s_and_saveexec_b32 s33, s1
	s_cbranch_execz .LBB0_13
; %bb.12:
	s_waitcnt vmcnt(11)
	v_add_f64 v[57:58], v[7:8], v[31:32]
	v_add_f64 v[59:60], v[5:6], v[29:30]
	s_waitcnt vmcnt(5)
	v_add_f64 v[65:66], v[41:42], -v[25:26]
	s_waitcnt vmcnt(4)
	v_add_f64 v[67:68], v[49:50], -v[21:22]
	v_add_f64 v[63:64], v[51:52], v[23:24]
	v_add_f64 v[69:70], v[51:52], -v[23:24]
	s_waitcnt vmcnt(3)
	v_add_f64 v[71:72], v[45:46], -v[17:18]
	v_add_f64 v[73:74], v[47:48], -v[19:20]
	s_waitcnt vmcnt(2)
	v_add_f64 v[77:78], v[37:38], -v[13:14]
	;; [unrolled: 3-line block ×3, first 2 shown]
	s_waitcnt vmcnt(0)
	v_add_f64 v[89:90], v[29:30], -v[1:2]
	v_add_f64 v[81:82], v[31:32], v[3:4]
	v_add_f64 v[31:32], v[31:32], -v[3:4]
	s_mov_b32 s37, 0x3fddbe06
	s_mov_b32 s36, 0x4267c47c
	;; [unrolled: 1-line block ×8, first 2 shown]
	v_add_f64 v[57:58], v[57:58], v[35:36]
	v_add_f64 v[59:60], v[59:60], v[33:34]
	s_mov_b32 s7, 0xbfe5384d
	s_mov_b32 s15, 0x3fea55e2
	;; [unrolled: 1-line block ×8, first 2 shown]
	v_mul_f64 v[91:92], v[67:68], s[36:37]
	v_mul_f64 v[93:94], v[69:70], s[36:37]
	;; [unrolled: 1-line block ×6, first 2 shown]
	v_add_f64 v[29:30], v[29:30], v[1:2]
	v_mul_f64 v[95:96], v[89:90], s[16:17]
	v_mul_f64 v[101:102], v[89:90], s[22:23]
	;; [unrolled: 1-line block ×5, first 2 shown]
	v_add_f64 v[57:58], v[57:58], v[39:40]
	v_add_f64 v[59:60], v[59:60], v[37:38]
	v_mul_f64 v[113:114], v[31:32], s[16:17]
	v_mul_f64 v[115:116], v[31:32], s[22:23]
	;; [unrolled: 1-line block ×3, first 2 shown]
	s_mov_b32 s0, 0x93053d00
	s_mov_b32 s24, 0xe00740e9
	;; [unrolled: 1-line block ×12, first 2 shown]
	v_add_f64 v[37:38], v[37:38], v[13:14]
	v_add_f64 v[33:34], v[33:34], v[9:10]
	v_mul_f64 v[121:122], v[79:80], s[18:19]
	v_fma_f64 v[129:130], v[81:82], s[30:31], v[95:96]
	v_fma_f64 v[95:96], v[81:82], s[30:31], -v[95:96]
	v_add_f64 v[57:58], v[57:58], v[47:48]
	v_add_f64 v[61:62], v[59:60], v[45:46]
	;; [unrolled: 1-line block ×4, first 2 shown]
	v_fma_f64 v[131:132], v[81:82], s[34:35], v[101:102]
	v_fma_f64 v[101:102], v[81:82], s[34:35], -v[101:102]
	v_fma_f64 v[133:134], v[81:82], s[28:29], v[107:108]
	v_fma_f64 v[135:136], v[29:30], s[0:1], -v[109:110]
	v_fma_f64 v[107:108], v[81:82], s[28:29], -v[107:108]
	v_fma_f64 v[109:110], v[29:30], s[0:1], v[109:110]
	v_fma_f64 v[137:138], v[29:30], s[26:27], -v[111:112]
	v_fma_f64 v[111:112], v[29:30], s[26:27], v[111:112]
	;; [unrolled: 2-line block ×5, first 2 shown]
	s_mov_b32 s39, 0x3fe5384d
	s_mov_b32 s38, s6
	v_mul_f64 v[119:120], v[77:78], s[6:7]
	v_mul_f64 v[125:126], v[79:80], s[38:39]
	v_add_f64 v[85:86], v[57:58], v[51:52]
	v_add_f64 v[87:88], v[61:62], v[49:50]
	v_add_f64 v[57:58], v[41:42], v[25:26]
	v_add_f64 v[61:62], v[43:44], -v[27:28]
	v_add_f64 v[51:52], v[47:48], v[19:20]
	v_add_f64 v[47:48], v[39:40], v[15:16]
	;; [unrolled: 1-line block ×3, first 2 shown]
	v_add_f64 v[35:36], v[35:36], -v[11:12]
	v_add_f64 v[49:50], v[49:50], v[21:22]
	v_add_f64 v[135:136], v[5:6], v[135:136]
	v_add_f64 v[109:110], v[5:6], v[109:110]
	v_add_f64 v[137:138], v[5:6], v[137:138]
	v_add_f64 v[111:112], v[5:6], v[111:112]
	v_add_f64 v[129:130], v[7:8], v[129:130]
	v_add_f64 v[139:140], v[5:6], v[139:140]
	v_add_f64 v[95:96], v[7:8], v[95:96]
	v_add_f64 v[113:114], v[5:6], v[113:114]
	v_add_f64 v[131:132], v[7:8], v[131:132]
	v_add_f64 v[141:142], v[5:6], v[141:142]
	v_add_f64 v[101:102], v[7:8], v[101:102]
	v_add_f64 v[115:116], v[5:6], v[115:116]
	v_add_f64 v[133:134], v[7:8], v[133:134]
	v_add_f64 v[43:44], v[85:86], v[43:44]
	v_add_f64 v[41:42], v[87:88], v[41:42]
	v_mul_f64 v[87:88], v[89:90], s[6:7]
	v_add_f64 v[143:144], v[5:6], v[143:144]
	v_add_f64 v[107:108], v[7:8], v[107:108]
	;; [unrolled: 1-line block ×3, first 2 shown]
	v_mul_f64 v[145:146], v[79:80], s[2:3]
	v_mul_f64 v[85:86], v[35:36], s[36:37]
	;; [unrolled: 1-line block ×4, first 2 shown]
	s_mov_b32 s41, 0x3fedeba7
	s_mov_b32 s40, s16
	v_fma_f64 v[147:148], v[63:64], s[24:25], v[91:92]
	v_fma_f64 v[91:92], v[63:64], s[24:25], -v[91:92]
	v_add_f64 v[27:28], v[43:44], v[27:28]
	v_add_f64 v[25:26], v[41:42], v[25:26]
	v_mul_f64 v[43:44], v[79:80], s[36:37]
	v_mul_f64 v[41:42], v[89:90], s[2:3]
	v_add_f64 v[27:28], v[27:28], v[23:24]
	v_add_f64 v[25:26], v[25:26], v[21:22]
	v_mul_f64 v[23:24], v[65:66], s[36:37]
	v_mul_f64 v[21:22], v[61:62], s[36:37]
	s_mov_b32 s37, 0xbfddbe06
	v_mul_f64 v[89:90], v[89:90], s[36:37]
	v_mul_f64 v[31:32], v[31:32], s[36:37]
	s_mov_b32 s37, 0x3fcea1e5
	s_mov_b32 s36, s2
	v_add_f64 v[19:20], v[27:28], v[19:20]
	v_add_f64 v[17:18], v[25:26], v[17:18]
	v_fma_f64 v[25:26], v[81:82], s[0:1], v[41:42]
	v_fma_f64 v[27:28], v[81:82], s[0:1], -v[41:42]
	v_fma_f64 v[41:42], v[81:82], s[26:27], v[87:88]
	v_fma_f64 v[87:88], v[81:82], s[26:27], -v[87:88]
	v_add_f64 v[15:16], v[19:20], v[15:16]
	v_add_f64 v[13:14], v[17:18], v[13:14]
	v_fma_f64 v[19:20], v[81:82], s[24:25], v[89:90]
	v_fma_f64 v[81:82], v[81:82], s[24:25], -v[89:90]
	v_fma_f64 v[89:90], v[29:30], s[24:25], -v[31:32]
	v_fma_f64 v[29:30], v[29:30], s[24:25], v[31:32]
	v_fma_f64 v[17:18], v[39:40], s[24:25], v[43:44]
	v_fma_f64 v[31:32], v[33:34], s[24:25], -v[85:86]
	v_fma_f64 v[43:44], v[39:40], s[24:25], -v[43:44]
	v_fma_f64 v[85:86], v[33:34], s[24:25], v[85:86]
	v_add_f64 v[25:26], v[7:8], v[25:26]
	v_add_f64 v[27:28], v[7:8], v[27:28]
	v_add_f64 v[41:42], v[7:8], v[41:42]
	v_add_f64 v[87:88], v[7:8], v[87:88]
	v_add_f64 v[11:12], v[15:16], v[11:12]
	v_add_f64 v[9:10], v[13:14], v[9:10]
	v_add_f64 v[19:20], v[7:8], v[19:20]
	v_add_f64 v[81:82], v[7:8], v[81:82]
	v_add_f64 v[89:90], v[5:6], v[89:90]
	v_add_f64 v[29:30], v[5:6], v[29:30]
	v_fma_f64 v[5:6], v[39:40], s[34:35], v[121:122]
	v_fma_f64 v[7:8], v[33:34], s[34:35], -v[123:124]
	v_mul_f64 v[13:14], v[75:76], s[6:7]
	v_fma_f64 v[15:16], v[39:40], s[34:35], -v[121:122]
	v_mul_f64 v[121:122], v[77:78], s[20:21]
	v_fma_f64 v[123:124], v[33:34], s[34:35], v[123:124]
	v_add_f64 v[17:18], v[17:18], v[25:26]
	v_fma_f64 v[25:26], v[39:40], s[26:27], v[125:126]
	v_add_f64 v[31:32], v[31:32], v[135:136]
	v_mul_f64 v[135:136], v[75:76], s[20:21]
	v_add_f64 v[27:28], v[43:44], v[27:28]
	v_fma_f64 v[43:44], v[33:34], s[26:27], -v[127:128]
	v_add_f64 v[85:86], v[85:86], v[109:110]
	v_fma_f64 v[109:110], v[47:48], s[26:27], v[119:120]
	v_fma_f64 v[119:120], v[47:48], s[26:27], -v[119:120]
	v_fma_f64 v[125:126], v[39:40], s[26:27], -v[125:126]
	v_fma_f64 v[127:128], v[33:34], s[26:27], v[127:128]
	v_add_f64 v[3:4], v[11:12], v[3:4]
	v_add_f64 v[1:2], v[9:10], v[1:2]
	v_fma_f64 v[9:10], v[39:40], s[0:1], v[145:146]
	v_mul_f64 v[11:12], v[77:78], s[40:41]
	v_add_f64 v[5:6], v[5:6], v[41:42]
	v_mul_f64 v[41:42], v[71:72], s[14:15]
	v_add_f64 v[7:8], v[7:8], v[137:138]
	v_fma_f64 v[137:138], v[37:38], s[26:27], -v[13:14]
	v_add_f64 v[15:16], v[15:16], v[87:88]
	v_mul_f64 v[87:88], v[73:74], s[14:15]
	v_fma_f64 v[13:14], v[37:38], s[26:27], v[13:14]
	v_add_f64 v[111:112], v[123:124], v[111:112]
	v_fma_f64 v[123:124], v[47:48], s[28:29], v[121:122]
	v_add_f64 v[25:26], v[25:26], v[129:130]
	v_fma_f64 v[129:130], v[37:38], s[28:29], -v[135:136]
	v_add_f64 v[43:44], v[43:44], v[139:140]
	v_mul_f64 v[139:140], v[67:68], s[16:17]
	v_fma_f64 v[121:122], v[47:48], s[28:29], -v[121:122]
	v_add_f64 v[17:18], v[109:110], v[17:18]
	v_mul_f64 v[109:110], v[69:70], s[16:17]
	v_fma_f64 v[135:136], v[37:38], s[28:29], v[135:136]
	v_add_f64 v[27:28], v[119:120], v[27:28]
	v_add_f64 v[95:96], v[125:126], v[95:96]
	v_mul_f64 v[125:126], v[73:74], s[22:23]
	v_add_f64 v[113:114], v[127:128], v[113:114]
	v_mul_f64 v[127:128], v[35:36], s[16:17]
	;; [unrolled: 2-line block ×3, first 2 shown]
	v_add_f64 v[31:32], v[137:138], v[31:32]
	v_fma_f64 v[137:138], v[51:52], s[28:29], v[41:42]
	v_fma_f64 v[119:120], v[45:46], s[28:29], -v[87:88]
	v_add_f64 v[13:14], v[13:14], v[85:86]
	v_fma_f64 v[85:86], v[47:48], s[24:25], v[97:98]
	v_add_f64 v[5:6], v[123:124], v[5:6]
	v_fma_f64 v[123:124], v[37:38], s[24:25], -v[99:100]
	v_add_f64 v[7:8], v[129:130], v[7:8]
	v_mul_f64 v[129:130], v[71:72], s[36:37]
	v_fma_f64 v[41:42], v[51:52], s[28:29], -v[41:42]
	v_add_f64 v[15:16], v[121:122], v[15:16]
	v_mul_f64 v[121:122], v[73:74], s[36:37]
	v_fma_f64 v[87:88], v[45:46], s[28:29], v[87:88]
	v_add_f64 v[111:112], v[135:136], v[111:112]
	v_fma_f64 v[135:136], v[63:64], s[30:31], v[139:140]
	v_fma_f64 v[97:98], v[47:48], s[24:25], -v[97:98]
	v_fma_f64 v[139:140], v[63:64], s[30:31], -v[139:140]
	v_fma_f64 v[99:100], v[37:38], s[24:25], v[99:100]
	v_add_f64 v[17:18], v[137:138], v[17:18]
	v_mul_f64 v[137:138], v[65:66], s[18:19]
	v_add_f64 v[31:32], v[119:120], v[31:32]
	v_fma_f64 v[119:120], v[49:50], s[30:31], -v[109:110]
	v_add_f64 v[25:26], v[85:86], v[25:26]
	v_mul_f64 v[85:86], v[61:62], s[18:19]
	v_add_f64 v[43:44], v[123:124], v[43:44]
	v_fma_f64 v[123:124], v[51:52], s[0:1], v[129:130]
	v_add_f64 v[27:28], v[41:42], v[27:28]
	v_fma_f64 v[129:130], v[51:52], s[0:1], -v[129:130]
	v_fma_f64 v[41:42], v[45:46], s[0:1], -v[121:122]
	v_add_f64 v[13:14], v[87:88], v[13:14]
	v_fma_f64 v[121:122], v[45:46], s[0:1], v[121:122]
	v_fma_f64 v[109:110], v[49:50], s[30:31], v[109:110]
	v_add_f64 v[95:96], v[97:98], v[95:96]
	v_add_f64 v[99:100], v[99:100], v[113:114]
	v_fma_f64 v[113:114], v[45:46], s[34:35], v[125:126]
	v_add_f64 v[17:18], v[135:136], v[17:18]
	v_fma_f64 v[135:136], v[59:60], s[34:35], v[137:138]
	v_add_f64 v[31:32], v[119:120], v[31:32]
	v_mul_f64 v[119:120], v[71:72], s[22:23]
	v_fma_f64 v[87:88], v[57:58], s[34:35], -v[85:86]
	v_fma_f64 v[85:86], v[57:58], s[34:35], v[85:86]
	v_add_f64 v[123:124], v[123:124], v[5:6]
	v_add_f64 v[27:28], v[139:140], v[27:28]
	;; [unrolled: 1-line block ×4, first 2 shown]
	v_fma_f64 v[139:140], v[39:40], s[0:1], -v[145:146]
	v_add_f64 v[13:14], v[109:110], v[13:14]
	v_fma_f64 v[109:110], v[49:50], s[24:25], -v[93:94]
	v_fma_f64 v[93:94], v[49:50], s[24:25], v[93:94]
	v_add_f64 v[99:100], v[113:114], v[99:100]
	v_mul_f64 v[113:114], v[71:72], s[38:39]
	v_mul_f64 v[71:72], v[71:72], s[16:17]
	v_add_f64 v[7:8], v[135:136], v[17:18]
	v_fma_f64 v[17:18], v[45:46], s[34:35], -v[125:126]
	v_mul_f64 v[125:126], v[75:76], s[2:3]
	v_fma_f64 v[129:130], v[51:52], s[34:35], v[119:120]
	v_add_f64 v[5:6], v[87:88], v[31:32]
	v_mul_f64 v[31:32], v[35:36], s[2:3]
	v_fma_f64 v[97:98], v[51:52], s[34:35], -v[119:120]
	v_mul_f64 v[119:120], v[69:70], s[36:37]
	v_add_f64 v[87:88], v[121:122], v[111:112]
	v_mul_f64 v[111:112], v[67:68], s[36:37]
	v_mul_f64 v[121:122], v[79:80], s[16:17]
	v_add_f64 v[91:92], v[91:92], v[15:16]
	v_add_f64 v[101:102], v[139:140], v[101:102]
	;; [unrolled: 1-line block ×3, first 2 shown]
	v_mul_f64 v[109:110], v[77:78], s[2:3]
	v_mul_f64 v[35:36], v[35:36], s[20:21]
	;; [unrolled: 1-line block ×4, first 2 shown]
	v_add_f64 v[123:124], v[147:148], v[123:124]
	v_add_f64 v[17:18], v[17:18], v[43:44]
	;; [unrolled: 1-line block ×3, first 2 shown]
	v_fma_f64 v[129:130], v[47:48], s[30:31], v[11:12]
	v_fma_f64 v[43:44], v[33:34], s[0:1], -v[31:32]
	v_fma_f64 v[31:32], v[33:34], s[0:1], v[31:32]
	v_add_f64 v[95:96], v[97:98], v[95:96]
	v_fma_f64 v[97:98], v[49:50], s[0:1], -v[119:120]
	v_fma_f64 v[135:136], v[63:64], s[0:1], v[111:112]
	v_fma_f64 v[111:112], v[63:64], s[0:1], -v[111:112]
	v_fma_f64 v[15:16], v[39:40], s[30:31], v[121:122]
	v_add_f64 v[87:88], v[93:94], v[87:88]
	v_fma_f64 v[93:94], v[33:34], s[30:31], -v[127:128]
	v_fma_f64 v[11:12], v[47:48], s[30:31], -v[11:12]
	;; [unrolled: 1-line block ×3, first 2 shown]
	v_fma_f64 v[127:128], v[33:34], s[30:31], v[127:128]
	v_fma_f64 v[139:140], v[33:34], s[28:29], v[35:36]
	v_fma_f64 v[33:34], v[33:34], s[28:29], -v[35:36]
	v_fma_f64 v[119:120], v[49:50], s[0:1], v[119:120]
	v_add_f64 v[9:10], v[129:130], v[9:10]
	v_fma_f64 v[129:130], v[51:52], s[24:25], v[103:104]
	v_add_f64 v[43:44], v[43:44], v[141:142]
	v_fma_f64 v[141:142], v[37:38], s[30:31], -v[131:132]
	v_add_f64 v[31:32], v[31:32], v[115:116]
	v_fma_f64 v[115:116], v[37:38], s[30:31], v[131:132]
	v_add_f64 v[97:98], v[97:98], v[17:18]
	v_mul_f64 v[17:18], v[79:80], s[20:21]
	v_add_f64 v[79:80], v[111:112], v[95:96]
	v_add_f64 v[15:16], v[15:16], v[133:134]
	v_fma_f64 v[111:112], v[47:48], s[0:1], v[109:110]
	v_add_f64 v[93:94], v[93:94], v[143:144]
	v_fma_f64 v[131:132], v[37:38], s[0:1], -v[125:126]
	v_mul_f64 v[133:134], v[73:74], s[38:39]
	v_add_f64 v[25:26], v[135:136], v[25:26]
	v_mul_f64 v[95:96], v[67:68], s[20:21]
	v_mul_f64 v[135:136], v[69:70], s[20:21]
	v_add_f64 v[11:12], v[11:12], v[101:102]
	v_fma_f64 v[101:102], v[51:52], s[24:25], -v[103:104]
	v_fma_f64 v[103:104], v[45:46], s[24:25], v[105:106]
	v_add_f64 v[107:108], v[121:122], v[107:108]
	v_fma_f64 v[109:110], v[47:48], s[0:1], -v[109:110]
	v_mul_f64 v[121:122], v[67:68], s[18:19]
	v_add_f64 v[9:10], v[129:130], v[9:10]
	v_fma_f64 v[129:130], v[45:46], s[24:25], -v[105:106]
	v_add_f64 v[43:44], v[141:142], v[43:44]
	v_mul_f64 v[141:142], v[69:70], s[18:19]
	v_add_f64 v[31:32], v[115:116], v[31:32]
	v_add_f64 v[29:30], v[139:140], v[29:30]
	v_fma_f64 v[105:106], v[39:40], s[28:29], -v[17:18]
	v_fma_f64 v[17:18], v[39:40], s[28:29], v[17:18]
	v_add_f64 v[39:40], v[127:128], v[117:118]
	v_add_f64 v[15:16], v[111:112], v[15:16]
	v_fma_f64 v[111:112], v[51:52], s[26:27], v[113:114]
	v_add_f64 v[93:94], v[131:132], v[93:94]
	v_fma_f64 v[131:132], v[45:46], s[26:27], -v[133:134]
	v_fma_f64 v[117:118], v[37:38], s[0:1], v[125:126]
	v_fma_f64 v[115:116], v[63:64], s[28:29], v[95:96]
	v_fma_f64 v[35:36], v[49:50], s[28:29], -v[135:136]
	v_fma_f64 v[95:96], v[63:64], s[28:29], -v[95:96]
	v_add_f64 v[11:12], v[101:102], v[11:12]
	v_fma_f64 v[101:102], v[47:48], s[34:35], -v[77:78]
	v_mul_f64 v[73:74], v[73:74], s[16:17]
	v_add_f64 v[107:108], v[109:110], v[107:108]
	v_fma_f64 v[109:110], v[51:52], s[26:27], -v[113:114]
	v_fma_f64 v[47:48], v[47:48], s[34:35], v[77:78]
	v_add_f64 v[33:34], v[33:34], v[89:90]
	v_add_f64 v[43:44], v[129:130], v[43:44]
	;; [unrolled: 1-line block ×4, first 2 shown]
	v_fma_f64 v[103:104], v[37:38], s[34:35], v[75:76]
	v_add_f64 v[81:82], v[105:106], v[81:82]
	v_fma_f64 v[105:106], v[49:50], s[28:29], v[135:136]
	v_add_f64 v[17:18], v[17:18], v[19:20]
	v_fma_f64 v[19:20], v[49:50], s[34:35], -v[141:142]
	v_add_f64 v[15:16], v[111:112], v[15:16]
	v_fma_f64 v[111:112], v[63:64], s[34:35], v[121:122]
	v_add_f64 v[93:94], v[131:132], v[93:94]
	v_fma_f64 v[37:38], v[37:38], s[34:35], -v[75:76]
	v_add_f64 v[39:40], v[117:118], v[39:40]
	v_fma_f64 v[75:76], v[45:46], s[26:27], v[133:134]
	v_add_f64 v[89:90], v[115:116], v[9:10]
	v_mul_f64 v[69:70], v[69:70], s[6:7]
	v_fma_f64 v[113:114], v[59:60], s[24:25], v[23:24]
	v_fma_f64 v[117:118], v[57:58], s[24:25], -v[21:22]
	v_add_f64 v[99:100], v[35:36], v[43:44]
	v_add_f64 v[35:36], v[95:96], v[11:12]
	v_fma_f64 v[11:12], v[51:52], s[30:31], -v[71:72]
	v_mul_f64 v[43:44], v[67:68], s[6:7]
	v_add_f64 v[9:10], v[101:102], v[81:82]
	v_add_f64 v[29:30], v[103:104], v[29:30]
	v_fma_f64 v[67:68], v[45:46], s[30:31], v[73:74]
	v_add_f64 v[81:82], v[105:106], v[31:32]
	v_add_f64 v[31:32], v[109:110], v[107:108]
	v_fma_f64 v[95:96], v[63:64], s[34:35], -v[121:122]
	v_add_f64 v[101:102], v[111:112], v[15:16]
	v_fma_f64 v[15:16], v[51:52], s[30:31], v[71:72]
	v_add_f64 v[17:18], v[47:48], v[17:18]
	v_add_f64 v[71:72], v[19:20], v[93:94]
	v_fma_f64 v[19:20], v[45:46], s[30:31], -v[73:74]
	v_add_f64 v[33:34], v[37:38], v[33:34]
	v_mul_f64 v[51:52], v[65:66], s[16:17]
	v_mul_f64 v[47:48], v[61:62], s[16:17]
	v_add_f64 v[37:38], v[75:76], v[39:40]
	v_fma_f64 v[39:40], v[49:50], s[34:35], v[141:142]
	v_mul_f64 v[45:46], v[65:66], s[14:15]
	v_mul_f64 v[73:74], v[61:62], s[14:15]
	;; [unrolled: 1-line block ×5, first 2 shown]
	v_fma_f64 v[105:106], v[59:60], s[24:25], -v[23:24]
	v_add_f64 v[9:10], v[11:12], v[9:10]
	v_fma_f64 v[11:12], v[63:64], s[26:27], -v[43:44]
	v_add_f64 v[29:30], v[67:68], v[29:30]
	v_fma_f64 v[67:68], v[49:50], s[26:27], v[69:70]
	v_fma_f64 v[43:44], v[63:64], s[26:27], v[43:44]
	v_add_f64 v[95:96], v[95:96], v[31:32]
	v_mul_f64 v[31:32], v[61:62], s[6:7]
	v_fma_f64 v[49:50], v[49:50], s[26:27], -v[69:70]
	v_add_f64 v[15:16], v[15:16], v[17:18]
	v_fma_f64 v[109:110], v[57:58], s[24:25], v[21:22]
	v_fma_f64 v[75:76], v[59:60], s[34:35], -v[137:138]
	v_add_f64 v[19:20], v[19:20], v[33:34]
	v_fma_f64 v[61:62], v[59:60], s[30:31], v[51:52]
	v_fma_f64 v[17:18], v[57:58], s[30:31], -v[47:48]
	v_fma_f64 v[33:34], v[57:58], s[30:31], v[47:48]
	v_add_f64 v[47:48], v[39:40], v[37:38]
	v_fma_f64 v[37:38], v[59:60], s[28:29], v[45:46]
	v_fma_f64 v[39:40], v[57:58], s[28:29], -v[73:74]
	v_fma_f64 v[63:64], v[57:58], s[28:29], v[73:74]
	v_fma_f64 v[69:70], v[59:60], s[26:27], v[93:94]
	v_fma_f64 v[73:74], v[59:60], s[26:27], -v[93:94]
	v_fma_f64 v[107:108], v[57:58], s[0:1], v[103:104]
	v_fma_f64 v[45:46], v[59:60], s[28:29], -v[45:46]
	v_add_f64 v[93:94], v[11:12], v[9:10]
	v_fma_f64 v[51:52], v[59:60], s[30:31], -v[51:52]
	v_add_f64 v[29:30], v[67:68], v[29:30]
	v_fma_f64 v[67:68], v[59:60], s[0:1], -v[65:66]
	v_fma_f64 v[59:60], v[59:60], s[0:1], v[65:66]
	v_fma_f64 v[111:112], v[57:58], s[26:27], v[31:32]
	v_fma_f64 v[65:66], v[57:58], s[26:27], -v[31:32]
	v_add_f64 v[115:116], v[43:44], v[15:16]
	v_fma_f64 v[57:58], v[57:58], s[0:1], -v[103:104]
	v_add_f64 v[9:10], v[85:86], v[13:14]
	v_add_f64 v[49:50], v[49:50], v[19:20]
	;; [unrolled: 1-line block ×23, first 2 shown]
	v_mul_u32_u24_e32 v57, 0xd00, v84
	v_lshlrev_b32_e32 v58, 4, v83
	v_add3_u32 v57, 0, v57, v58
	ds_write_b128 v57, v[1:4]
	ds_write_b128 v57, v[37:40] offset:256
	ds_write_b128 v57, v[33:36] offset:512
	;; [unrolled: 1-line block ×12, first 2 shown]
.LBB0_13:
	s_or_b32 exec_lo, exec_lo, s33
	s_or_b32 s0, s10, vcc_lo
	s_waitcnt vmcnt(0) lgkmcnt(0)
	s_barrier
	buffer_gl0_inv
	s_and_saveexec_b32 s1, s0
	s_cbranch_execz .LBB0_15
; %bb.14:
	v_mul_lo_u16 v1, v84, 20
	v_mov_b32_e32 v2, 7
	v_lshlrev_b32_e32 v29, 8, v84
	v_lshlrev_b32_e32 v30, 4, v83
	v_mul_u32_u24_e32 v82, 0x13c, v0
	v_lshrrev_b16 v1, 8, v1
	v_mad_u64_u32 v[79:80], null, s11, v83, v[54:55]
	v_add3_u32 v61, 0, v29, v30
	s_mov_b32 s0, 0x667f3bcd
	v_mul_lo_u16 v1, v1, 13
	s_mov_b32 s1, 0x3fe6a09e
	s_mov_b32 s3, 0xbfe6a09e
	;; [unrolled: 1-line block ×3, first 2 shown]
	v_mov_b32_e32 v54, v79
	v_sub_nc_u16 v81, v84, v1
	v_mul_u32_u24_sdwa v1, v81, v2 dst_sel:DWORD dst_unused:UNUSED_PAD src0_sel:BYTE_0 src1_sel:DWORD
	v_lshlrev_b32_e32 v25, 4, v1
	s_clause 0x6
	global_load_dwordx4 v[1:4], v25, s[4:5] offset:48
	global_load_dwordx4 v[5:8], v25, s[4:5] offset:16
	;; [unrolled: 1-line block ×3, first 2 shown]
	global_load_dwordx4 v[13:16], v25, s[4:5]
	global_load_dwordx4 v[17:20], v25, s[4:5] offset:64
	global_load_dwordx4 v[21:24], v25, s[4:5] offset:32
	;; [unrolled: 1-line block ×3, first 2 shown]
	ds_read_b128 v[29:32], v61 offset:13312
	ds_read_b128 v[33:36], v61 offset:6656
	ds_read_b128 v[37:40], v61 offset:19968
	ds_read_b128 v[41:44], v61 offset:3328
	ds_read_b128 v[45:48], v61 offset:16640
	ds_read_b128 v[49:52], v61 offset:9984
	ds_read_b128 v[57:60], v61 offset:23296
	ds_read_b128 v[61:64], v61
	s_waitcnt vmcnt(6) lgkmcnt(7)
	v_mul_f64 v[65:66], v[29:30], v[3:4]
	s_waitcnt vmcnt(5) lgkmcnt(6)
	v_mul_f64 v[67:68], v[35:36], v[7:8]
	;; [unrolled: 2-line block ×7, first 2 shown]
	v_mul_f64 v[15:16], v[43:44], v[15:16]
	v_mul_f64 v[19:20], v[47:48], v[19:20]
	;; [unrolled: 1-line block ×7, first 2 shown]
	v_fma_f64 v[31:32], v[31:32], v[1:2], -v[65:66]
	v_fma_f64 v[33:34], v[33:34], v[5:6], v[67:68]
	v_fma_f64 v[37:38], v[37:38], v[9:10], v[69:70]
	v_fma_f64 v[43:44], v[43:44], v[13:14], -v[71:72]
	v_fma_f64 v[47:48], v[47:48], v[17:18], -v[73:74]
	v_fma_f64 v[49:50], v[49:50], v[21:22], v[75:76]
	v_fma_f64 v[57:58], v[57:58], v[25:26], v[77:78]
	;; [unrolled: 1-line block ×4, first 2 shown]
	v_fma_f64 v[17:18], v[51:52], v[21:22], -v[23:24]
	v_fma_f64 v[19:20], v[59:60], v[25:26], -v[27:28]
	v_fma_f64 v[0:1], v[29:30], v[1:2], v[3:4]
	v_fma_f64 v[2:3], v[35:36], v[5:6], -v[7:8]
	v_fma_f64 v[4:5], v[39:40], v[9:10], -v[11:12]
	v_lshrrev_b32_e32 v8, 16, v82
	v_lshlrev_b64 v[6:7], 4, v[55:56]
	v_mul_lo_u16 v8, 0x68, v8
	v_add_co_u32 v12, vcc_lo, s12, v6
	v_add_co_ci_u32_e32 v25, vcc_lo, s13, v7, vcc_lo
	v_add_nc_u32_sdwa v51, v8, v81 dst_sel:DWORD dst_unused:UNUSED_PAD src0_sel:WORD_0 src1_sel:BYTE_0
	s_waitcnt lgkmcnt(0)
	v_add_f64 v[8:9], v[63:64], -v[31:32]
	v_add_f64 v[10:11], v[33:34], -v[37:38]
	;; [unrolled: 1-line block ×5, first 2 shown]
	v_lshlrev_b64 v[6:7], 4, v[53:54]
	v_add_f64 v[19:20], v[17:18], -v[19:20]
	v_add_f64 v[0:1], v[61:62], -v[0:1]
	v_add_nc_u32_e32 v56, 13, v51
	v_add_f64 v[4:5], v[2:3], -v[4:5]
	v_add_nc_u32_e32 v57, 26, v51
	v_add_co_u32 v74, vcc_lo, v12, v6
	v_add_co_ci_u32_e32 v75, vcc_lo, v25, v7, vcc_lo
	v_mad_u64_u32 v[6:7], null, s8, v51, 0
	v_add_nc_u32_e32 v58, 39, v51
	v_add_nc_u32_e32 v59, 52, v51
	;; [unrolled: 1-line block ×5, first 2 shown]
	v_fma_f64 v[45:46], v[63:64], 2.0, -v[8:9]
	v_add_f64 v[35:36], v[8:9], -v[10:11]
	v_fma_f64 v[43:44], v[43:44], 2.0, -v[21:22]
	v_add_f64 v[37:38], v[21:22], -v[23:24]
	v_fma_f64 v[10:11], v[33:34], 2.0, -v[10:11]
	v_mad_u64_u32 v[25:26], null, s8, v56, 0
	v_add_f64 v[39:40], v[15:16], v[19:20]
	v_fma_f64 v[17:18], v[17:18], 2.0, -v[19:20]
	v_add_f64 v[41:42], v[0:1], v[4:5]
	v_fma_f64 v[2:3], v[2:3], 2.0, -v[4:5]
	v_fma_f64 v[4:5], v[13:14], 2.0, -v[15:16]
	;; [unrolled: 1-line block ×4, first 2 shown]
	v_mad_u64_u32 v[49:50], null, s9, v51, v[7:8]
	v_mad_u64_u32 v[27:28], null, s8, v57, 0
	;; [unrolled: 1-line block ×5, first 2 shown]
	v_fma_f64 v[50:51], v[8:9], 2.0, -v[35:36]
	v_fma_f64 v[8:9], v[21:22], 2.0, -v[37:38]
	v_mad_u64_u32 v[19:20], null, s8, v60, 0
	v_mov_b32_e32 v7, v26
	v_fma_f64 v[15:16], v[15:16], 2.0, -v[39:40]
	v_add_f64 v[17:18], v[43:44], -v[17:18]
	v_fma_f64 v[52:53], v[0:1], 2.0, -v[41:42]
	v_add_f64 v[21:22], v[45:46], -v[2:3]
	v_mov_b32_e32 v14, v28
	v_mov_b32_e32 v26, v30
	v_add_f64 v[54:55], v[23:24], -v[10:11]
	v_add_f64 v[10:11], v[4:5], -v[12:13]
	v_mov_b32_e32 v30, v34
	v_mov_b32_e32 v28, v32
	v_mad_u64_u32 v[12:13], null, s9, v58, v[26:27]
	v_mad_u64_u32 v[47:48], null, s8, v68, 0
	v_mad_u64_u32 v[1:2], null, s9, v56, v[7:8]
	v_fma_f64 v[62:63], v[8:9], s[2:3], v[50:51]
	v_mov_b32_e32 v0, v48
	v_mad_u64_u32 v[2:3], null, s9, v57, v[14:15]
	v_fma_f64 v[43:44], v[43:44], 2.0, -v[17:18]
	v_mad_u64_u32 v[56:57], null, s9, v60, v[20:21]
	v_fma_f64 v[45:46], v[45:46], 2.0, -v[21:22]
	v_fma_f64 v[66:67], v[23:24], 2.0, -v[54:55]
	;; [unrolled: 1-line block ×3, first 2 shown]
	v_mad_u64_u32 v[57:58], null, s9, v65, v[30:31]
	v_fma_f64 v[64:65], v[15:16], s[2:3], v[52:53]
	v_mad_u64_u32 v[13:14], null, s9, v59, v[28:29]
	v_fma_f64 v[58:59], v[37:38], s[0:1], v[35:36]
	v_fma_f64 v[60:61], v[39:40], s[0:1], v[41:42]
	v_mov_b32_e32 v7, v49
	v_mad_u64_u32 v[3:4], null, s9, v68, v[0:1]
	v_mov_b32_e32 v30, v12
	v_mov_b32_e32 v32, v13
	v_lshlrev_b64 v[68:69], 4, v[6:7]
	v_add_f64 v[6:7], v[21:22], -v[10:11]
	v_fma_f64 v[10:11], v[15:16], s[2:3], v[62:63]
	v_add_f64 v[4:5], v[54:55], v[17:18]
	v_mov_b32_e32 v26, v1
	v_mov_b32_e32 v28, v2
	;; [unrolled: 1-line block ×3, first 2 shown]
	v_add_f64 v[14:15], v[45:46], -v[43:44]
	v_mov_b32_e32 v20, v56
	v_add_f64 v[12:13], v[66:67], -v[23:24]
	v_lshlrev_b64 v[25:26], 4, v[25:26]
	v_lshlrev_b64 v[27:28], 4, v[27:28]
	v_fma_f64 v[8:9], v[8:9], s[0:1], v[64:65]
	v_mov_b32_e32 v34, v57
	v_lshlrev_b64 v[56:57], 4, v[29:30]
	v_fma_f64 v[2:3], v[39:40], s[2:3], v[58:59]
	v_fma_f64 v[0:1], v[37:38], s[0:1], v[60:61]
	v_add_co_u32 v39, vcc_lo, v74, v68
	v_add_co_ci_u32_e32 v40, vcc_lo, v75, v69, vcc_lo
	v_add_co_u32 v43, vcc_lo, v74, v25
	v_add_co_ci_u32_e32 v44, vcc_lo, v75, v26, vcc_lo
	v_lshlrev_b64 v[37:38], 4, v[47:48]
	v_add_co_u32 v47, vcc_lo, v74, v27
	v_lshlrev_b64 v[70:71], 4, v[31:32]
	v_add_co_ci_u32_e32 v48, vcc_lo, v75, v28, vcc_lo
	v_fma_f64 v[30:31], v[45:46], 2.0, -v[14:15]
	v_fma_f64 v[28:29], v[66:67], 2.0, -v[12:13]
	;; [unrolled: 1-line block ×4, first 2 shown]
	v_lshlrev_b64 v[72:73], 4, v[19:20]
	v_fma_f64 v[22:23], v[21:22], 2.0, -v[6:7]
	v_fma_f64 v[20:21], v[54:55], 2.0, -v[4:5]
	;; [unrolled: 1-line block ×4, first 2 shown]
	v_lshlrev_b64 v[32:33], 4, v[33:34]
	v_add_co_u32 v34, vcc_lo, v74, v56
	v_add_co_ci_u32_e32 v35, vcc_lo, v75, v57, vcc_lo
	v_add_co_u32 v41, vcc_lo, v74, v70
	v_add_co_ci_u32_e32 v42, vcc_lo, v75, v71, vcc_lo
	;; [unrolled: 2-line block ×5, first 2 shown]
	global_store_dwordx4 v[39:40], v[28:31], off
	global_store_dwordx4 v[43:44], v[24:27], off
	;; [unrolled: 1-line block ×8, first 2 shown]
.LBB0_15:
	s_endpgm
	.section	.rodata,"a",@progbits
	.p2align	6, 0x0
	.amdhsa_kernel fft_rtc_back_len104_factors_13_8_wgs_208_tpt_13_dp_ip_CI_sbcc_dirReg_intrinsicRead
		.amdhsa_group_segment_fixed_size 0
		.amdhsa_private_segment_fixed_size 0
		.amdhsa_kernarg_size 96
		.amdhsa_user_sgpr_count 6
		.amdhsa_user_sgpr_private_segment_buffer 1
		.amdhsa_user_sgpr_dispatch_ptr 0
		.amdhsa_user_sgpr_queue_ptr 0
		.amdhsa_user_sgpr_kernarg_segment_ptr 1
		.amdhsa_user_sgpr_dispatch_id 0
		.amdhsa_user_sgpr_flat_scratch_init 0
		.amdhsa_user_sgpr_private_segment_size 0
		.amdhsa_wavefront_size32 1
		.amdhsa_uses_dynamic_stack 0
		.amdhsa_system_sgpr_private_segment_wavefront_offset 0
		.amdhsa_system_sgpr_workgroup_id_x 1
		.amdhsa_system_sgpr_workgroup_id_y 0
		.amdhsa_system_sgpr_workgroup_id_z 0
		.amdhsa_system_sgpr_workgroup_info 0
		.amdhsa_system_vgpr_workitem_id 0
		.amdhsa_next_free_vgpr 149
		.amdhsa_next_free_sgpr 42
		.amdhsa_reserve_vcc 1
		.amdhsa_reserve_flat_scratch 0
		.amdhsa_float_round_mode_32 0
		.amdhsa_float_round_mode_16_64 0
		.amdhsa_float_denorm_mode_32 3
		.amdhsa_float_denorm_mode_16_64 3
		.amdhsa_dx10_clamp 1
		.amdhsa_ieee_mode 1
		.amdhsa_fp16_overflow 0
		.amdhsa_workgroup_processor_mode 1
		.amdhsa_memory_ordered 1
		.amdhsa_forward_progress 0
		.amdhsa_shared_vgpr_count 0
		.amdhsa_exception_fp_ieee_invalid_op 0
		.amdhsa_exception_fp_denorm_src 0
		.amdhsa_exception_fp_ieee_div_zero 0
		.amdhsa_exception_fp_ieee_overflow 0
		.amdhsa_exception_fp_ieee_underflow 0
		.amdhsa_exception_fp_ieee_inexact 0
		.amdhsa_exception_int_div_zero 0
	.end_amdhsa_kernel
	.text
.Lfunc_end0:
	.size	fft_rtc_back_len104_factors_13_8_wgs_208_tpt_13_dp_ip_CI_sbcc_dirReg_intrinsicRead, .Lfunc_end0-fft_rtc_back_len104_factors_13_8_wgs_208_tpt_13_dp_ip_CI_sbcc_dirReg_intrinsicRead
                                        ; -- End function
	.section	.AMDGPU.csdata,"",@progbits
; Kernel info:
; codeLenInByte = 7008
; NumSgprs: 44
; NumVgprs: 149
; ScratchSize: 0
; MemoryBound: 0
; FloatMode: 240
; IeeeMode: 1
; LDSByteSize: 0 bytes/workgroup (compile time only)
; SGPRBlocks: 5
; VGPRBlocks: 18
; NumSGPRsForWavesPerEU: 44
; NumVGPRsForWavesPerEU: 149
; Occupancy: 6
; WaveLimiterHint : 1
; COMPUTE_PGM_RSRC2:SCRATCH_EN: 0
; COMPUTE_PGM_RSRC2:USER_SGPR: 6
; COMPUTE_PGM_RSRC2:TRAP_HANDLER: 0
; COMPUTE_PGM_RSRC2:TGID_X_EN: 1
; COMPUTE_PGM_RSRC2:TGID_Y_EN: 0
; COMPUTE_PGM_RSRC2:TGID_Z_EN: 0
; COMPUTE_PGM_RSRC2:TIDIG_COMP_CNT: 0
	.text
	.p2alignl 6, 3214868480
	.fill 48, 4, 3214868480
	.type	__hip_cuid_27d3b9bdecc40ccb,@object ; @__hip_cuid_27d3b9bdecc40ccb
	.section	.bss,"aw",@nobits
	.globl	__hip_cuid_27d3b9bdecc40ccb
__hip_cuid_27d3b9bdecc40ccb:
	.byte	0                               ; 0x0
	.size	__hip_cuid_27d3b9bdecc40ccb, 1

	.ident	"AMD clang version 19.0.0git (https://github.com/RadeonOpenCompute/llvm-project roc-6.4.0 25133 c7fe45cf4b819c5991fe208aaa96edf142730f1d)"
	.section	".note.GNU-stack","",@progbits
	.addrsig
	.addrsig_sym __hip_cuid_27d3b9bdecc40ccb
	.amdgpu_metadata
---
amdhsa.kernels:
  - .args:
      - .actual_access:  read_only
        .address_space:  global
        .offset:         0
        .size:           8
        .value_kind:     global_buffer
      - .address_space:  global
        .offset:         8
        .size:           8
        .value_kind:     global_buffer
      - .offset:         16
        .size:           8
        .value_kind:     by_value
      - .actual_access:  read_only
        .address_space:  global
        .offset:         24
        .size:           8
        .value_kind:     global_buffer
      - .actual_access:  read_only
        .address_space:  global
        .offset:         32
        .size:           8
        .value_kind:     global_buffer
      - .offset:         40
        .size:           8
        .value_kind:     by_value
      - .actual_access:  read_only
        .address_space:  global
        .offset:         48
        .size:           8
        .value_kind:     global_buffer
      - .actual_access:  read_only
        .address_space:  global
        .offset:         56
        .size:           8
        .value_kind:     global_buffer
      - .offset:         64
        .size:           4
        .value_kind:     by_value
      - .actual_access:  read_only
        .address_space:  global
        .offset:         72
        .size:           8
        .value_kind:     global_buffer
      - .actual_access:  read_only
        .address_space:  global
        .offset:         80
        .size:           8
        .value_kind:     global_buffer
      - .address_space:  global
        .offset:         88
        .size:           8
        .value_kind:     global_buffer
    .group_segment_fixed_size: 0
    .kernarg_segment_align: 8
    .kernarg_segment_size: 96
    .language:       OpenCL C
    .language_version:
      - 2
      - 0
    .max_flat_workgroup_size: 208
    .name:           fft_rtc_back_len104_factors_13_8_wgs_208_tpt_13_dp_ip_CI_sbcc_dirReg_intrinsicRead
    .private_segment_fixed_size: 0
    .sgpr_count:     44
    .sgpr_spill_count: 0
    .symbol:         fft_rtc_back_len104_factors_13_8_wgs_208_tpt_13_dp_ip_CI_sbcc_dirReg_intrinsicRead.kd
    .uniform_work_group_size: 1
    .uses_dynamic_stack: false
    .vgpr_count:     149
    .vgpr_spill_count: 0
    .wavefront_size: 32
    .workgroup_processor_mode: 1
amdhsa.target:   amdgcn-amd-amdhsa--gfx1030
amdhsa.version:
  - 1
  - 2
...

	.end_amdgpu_metadata
